;; amdgpu-corpus repo=ROCm/rocFFT kind=compiled arch=gfx1201 opt=O3
	.text
	.amdgcn_target "amdgcn-amd-amdhsa--gfx1201"
	.amdhsa_code_object_version 6
	.protected	fft_rtc_fwd_len672_factors_2_2_2_2_2_3_7_wgs_56_tpt_56_halfLds_dp_ip_CI_unitstride_sbrr_dirReg ; -- Begin function fft_rtc_fwd_len672_factors_2_2_2_2_2_3_7_wgs_56_tpt_56_halfLds_dp_ip_CI_unitstride_sbrr_dirReg
	.globl	fft_rtc_fwd_len672_factors_2_2_2_2_2_3_7_wgs_56_tpt_56_halfLds_dp_ip_CI_unitstride_sbrr_dirReg
	.p2align	8
	.type	fft_rtc_fwd_len672_factors_2_2_2_2_2_3_7_wgs_56_tpt_56_halfLds_dp_ip_CI_unitstride_sbrr_dirReg,@function
fft_rtc_fwd_len672_factors_2_2_2_2_2_3_7_wgs_56_tpt_56_halfLds_dp_ip_CI_unitstride_sbrr_dirReg: ; @fft_rtc_fwd_len672_factors_2_2_2_2_2_3_7_wgs_56_tpt_56_halfLds_dp_ip_CI_unitstride_sbrr_dirReg
; %bb.0:
	s_clause 0x2
	s_load_b128 s[4:7], s[0:1], 0x0
	s_load_b64 s[8:9], s[0:1], 0x50
	s_load_b64 s[10:11], s[0:1], 0x18
	v_mul_u32_u24_e32 v1, 0x493, v0
	v_mov_b32_e32 v3, 0
	s_delay_alu instid0(VALU_DEP_2) | instskip(NEXT) | instid1(VALU_DEP_1)
	v_lshrrev_b32_e32 v1, 16, v1
	v_add_nc_u32_e32 v5, ttmp9, v1
	v_mov_b32_e32 v1, 0
	v_mov_b32_e32 v2, 0
	;; [unrolled: 1-line block ×3, first 2 shown]
	s_wait_kmcnt 0x0
	v_cmp_lt_u64_e64 s2, s[6:7], 2
	s_delay_alu instid0(VALU_DEP_1)
	s_and_b32 vcc_lo, exec_lo, s2
	s_cbranch_vccnz .LBB0_8
; %bb.1:
	s_load_b64 s[2:3], s[0:1], 0x10
	v_mov_b32_e32 v1, 0
	v_mov_b32_e32 v2, 0
	s_add_nc_u64 s[12:13], s[10:11], 8
	s_mov_b64 s[14:15], 1
	s_wait_kmcnt 0x0
	s_add_nc_u64 s[16:17], s[2:3], 8
	s_mov_b32 s3, 0
.LBB0_2:                                ; =>This Inner Loop Header: Depth=1
	s_load_b64 s[18:19], s[16:17], 0x0
                                        ; implicit-def: $vgpr7_vgpr8
	s_mov_b32 s2, exec_lo
	s_wait_kmcnt 0x0
	v_or_b32_e32 v4, s19, v6
	s_delay_alu instid0(VALU_DEP_1)
	v_cmpx_ne_u64_e32 0, v[3:4]
	s_wait_alu 0xfffe
	s_xor_b32 s20, exec_lo, s2
	s_cbranch_execz .LBB0_4
; %bb.3:                                ;   in Loop: Header=BB0_2 Depth=1
	s_cvt_f32_u32 s2, s18
	s_cvt_f32_u32 s21, s19
	s_sub_nc_u64 s[24:25], 0, s[18:19]
	s_wait_alu 0xfffe
	s_delay_alu instid0(SALU_CYCLE_1) | instskip(SKIP_1) | instid1(SALU_CYCLE_2)
	s_fmamk_f32 s2, s21, 0x4f800000, s2
	s_wait_alu 0xfffe
	v_s_rcp_f32 s2, s2
	s_delay_alu instid0(TRANS32_DEP_1) | instskip(SKIP_1) | instid1(SALU_CYCLE_2)
	s_mul_f32 s2, s2, 0x5f7ffffc
	s_wait_alu 0xfffe
	s_mul_f32 s21, s2, 0x2f800000
	s_wait_alu 0xfffe
	s_delay_alu instid0(SALU_CYCLE_2) | instskip(SKIP_1) | instid1(SALU_CYCLE_2)
	s_trunc_f32 s21, s21
	s_wait_alu 0xfffe
	s_fmamk_f32 s2, s21, 0xcf800000, s2
	s_cvt_u32_f32 s23, s21
	s_wait_alu 0xfffe
	s_delay_alu instid0(SALU_CYCLE_1) | instskip(SKIP_1) | instid1(SALU_CYCLE_2)
	s_cvt_u32_f32 s22, s2
	s_wait_alu 0xfffe
	s_mul_u64 s[26:27], s[24:25], s[22:23]
	s_wait_alu 0xfffe
	s_mul_hi_u32 s29, s22, s27
	s_mul_i32 s28, s22, s27
	s_mul_hi_u32 s2, s22, s26
	s_mul_i32 s30, s23, s26
	s_wait_alu 0xfffe
	s_add_nc_u64 s[28:29], s[2:3], s[28:29]
	s_mul_hi_u32 s21, s23, s26
	s_mul_hi_u32 s31, s23, s27
	s_add_co_u32 s2, s28, s30
	s_wait_alu 0xfffe
	s_add_co_ci_u32 s2, s29, s21
	s_mul_i32 s26, s23, s27
	s_add_co_ci_u32 s27, s31, 0
	s_wait_alu 0xfffe
	s_add_nc_u64 s[26:27], s[2:3], s[26:27]
	s_wait_alu 0xfffe
	v_add_co_u32 v4, s2, s22, s26
	s_delay_alu instid0(VALU_DEP_1) | instskip(SKIP_1) | instid1(VALU_DEP_1)
	s_cmp_lg_u32 s2, 0
	s_add_co_ci_u32 s23, s23, s27
	v_readfirstlane_b32 s22, v4
	s_wait_alu 0xfffe
	s_delay_alu instid0(VALU_DEP_1)
	s_mul_u64 s[24:25], s[24:25], s[22:23]
	s_wait_alu 0xfffe
	s_mul_hi_u32 s27, s22, s25
	s_mul_i32 s26, s22, s25
	s_mul_hi_u32 s2, s22, s24
	s_mul_i32 s28, s23, s24
	s_wait_alu 0xfffe
	s_add_nc_u64 s[26:27], s[2:3], s[26:27]
	s_mul_hi_u32 s21, s23, s24
	s_mul_hi_u32 s22, s23, s25
	s_wait_alu 0xfffe
	s_add_co_u32 s2, s26, s28
	s_add_co_ci_u32 s2, s27, s21
	s_mul_i32 s24, s23, s25
	s_add_co_ci_u32 s25, s22, 0
	s_wait_alu 0xfffe
	s_add_nc_u64 s[24:25], s[2:3], s[24:25]
	s_wait_alu 0xfffe
	v_add_co_u32 v4, s2, v4, s24
	s_delay_alu instid0(VALU_DEP_1) | instskip(SKIP_1) | instid1(VALU_DEP_1)
	s_cmp_lg_u32 s2, 0
	s_add_co_ci_u32 s2, s23, s25
	v_mul_hi_u32 v13, v5, v4
	s_wait_alu 0xfffe
	v_mad_co_u64_u32 v[7:8], null, v5, s2, 0
	v_mad_co_u64_u32 v[9:10], null, v6, v4, 0
	;; [unrolled: 1-line block ×3, first 2 shown]
	s_delay_alu instid0(VALU_DEP_3) | instskip(SKIP_1) | instid1(VALU_DEP_4)
	v_add_co_u32 v4, vcc_lo, v13, v7
	s_wait_alu 0xfffd
	v_add_co_ci_u32_e32 v7, vcc_lo, 0, v8, vcc_lo
	s_delay_alu instid0(VALU_DEP_2) | instskip(SKIP_1) | instid1(VALU_DEP_2)
	v_add_co_u32 v4, vcc_lo, v4, v9
	s_wait_alu 0xfffd
	v_add_co_ci_u32_e32 v4, vcc_lo, v7, v10, vcc_lo
	s_wait_alu 0xfffd
	v_add_co_ci_u32_e32 v7, vcc_lo, 0, v12, vcc_lo
	s_delay_alu instid0(VALU_DEP_2) | instskip(SKIP_1) | instid1(VALU_DEP_2)
	v_add_co_u32 v4, vcc_lo, v4, v11
	s_wait_alu 0xfffd
	v_add_co_ci_u32_e32 v9, vcc_lo, 0, v7, vcc_lo
	s_delay_alu instid0(VALU_DEP_2) | instskip(SKIP_1) | instid1(VALU_DEP_3)
	v_mul_lo_u32 v10, s19, v4
	v_mad_co_u64_u32 v[7:8], null, s18, v4, 0
	v_mul_lo_u32 v11, s18, v9
	s_delay_alu instid0(VALU_DEP_2) | instskip(NEXT) | instid1(VALU_DEP_2)
	v_sub_co_u32 v7, vcc_lo, v5, v7
	v_add3_u32 v8, v8, v11, v10
	s_delay_alu instid0(VALU_DEP_1) | instskip(SKIP_1) | instid1(VALU_DEP_1)
	v_sub_nc_u32_e32 v10, v6, v8
	s_wait_alu 0xfffd
	v_subrev_co_ci_u32_e64 v10, s2, s19, v10, vcc_lo
	v_add_co_u32 v11, s2, v4, 2
	s_wait_alu 0xf1ff
	v_add_co_ci_u32_e64 v12, s2, 0, v9, s2
	v_sub_co_u32 v13, s2, v7, s18
	v_sub_co_ci_u32_e32 v8, vcc_lo, v6, v8, vcc_lo
	s_wait_alu 0xf1ff
	v_subrev_co_ci_u32_e64 v10, s2, 0, v10, s2
	s_delay_alu instid0(VALU_DEP_3) | instskip(NEXT) | instid1(VALU_DEP_3)
	v_cmp_le_u32_e32 vcc_lo, s18, v13
	v_cmp_eq_u32_e64 s2, s19, v8
	s_wait_alu 0xfffd
	v_cndmask_b32_e64 v13, 0, -1, vcc_lo
	v_cmp_le_u32_e32 vcc_lo, s19, v10
	s_wait_alu 0xfffd
	v_cndmask_b32_e64 v14, 0, -1, vcc_lo
	v_cmp_le_u32_e32 vcc_lo, s18, v7
	;; [unrolled: 3-line block ×3, first 2 shown]
	s_wait_alu 0xfffd
	v_cndmask_b32_e64 v15, 0, -1, vcc_lo
	v_cmp_eq_u32_e32 vcc_lo, s19, v10
	s_wait_alu 0xf1ff
	s_delay_alu instid0(VALU_DEP_2)
	v_cndmask_b32_e64 v7, v15, v7, s2
	s_wait_alu 0xfffd
	v_cndmask_b32_e32 v10, v14, v13, vcc_lo
	v_add_co_u32 v13, vcc_lo, v4, 1
	s_wait_alu 0xfffd
	v_add_co_ci_u32_e32 v14, vcc_lo, 0, v9, vcc_lo
	s_delay_alu instid0(VALU_DEP_3) | instskip(SKIP_2) | instid1(VALU_DEP_3)
	v_cmp_ne_u32_e32 vcc_lo, 0, v10
	s_wait_alu 0xfffd
	v_cndmask_b32_e32 v10, v13, v11, vcc_lo
	v_cndmask_b32_e32 v8, v14, v12, vcc_lo
	v_cmp_ne_u32_e32 vcc_lo, 0, v7
	s_wait_alu 0xfffd
	s_delay_alu instid0(VALU_DEP_2)
	v_dual_cndmask_b32 v7, v4, v10 :: v_dual_cndmask_b32 v8, v9, v8
.LBB0_4:                                ;   in Loop: Header=BB0_2 Depth=1
	s_wait_alu 0xfffe
	s_and_not1_saveexec_b32 s2, s20
	s_cbranch_execz .LBB0_6
; %bb.5:                                ;   in Loop: Header=BB0_2 Depth=1
	v_cvt_f32_u32_e32 v4, s18
	s_sub_co_i32 s20, 0, s18
	s_delay_alu instid0(VALU_DEP_1) | instskip(NEXT) | instid1(TRANS32_DEP_1)
	v_rcp_iflag_f32_e32 v4, v4
	v_mul_f32_e32 v4, 0x4f7ffffe, v4
	s_delay_alu instid0(VALU_DEP_1) | instskip(SKIP_1) | instid1(VALU_DEP_1)
	v_cvt_u32_f32_e32 v4, v4
	s_wait_alu 0xfffe
	v_mul_lo_u32 v7, s20, v4
	s_delay_alu instid0(VALU_DEP_1) | instskip(NEXT) | instid1(VALU_DEP_1)
	v_mul_hi_u32 v7, v4, v7
	v_add_nc_u32_e32 v4, v4, v7
	s_delay_alu instid0(VALU_DEP_1) | instskip(NEXT) | instid1(VALU_DEP_1)
	v_mul_hi_u32 v4, v5, v4
	v_mul_lo_u32 v7, v4, s18
	v_add_nc_u32_e32 v8, 1, v4
	s_delay_alu instid0(VALU_DEP_2) | instskip(NEXT) | instid1(VALU_DEP_1)
	v_sub_nc_u32_e32 v7, v5, v7
	v_subrev_nc_u32_e32 v9, s18, v7
	v_cmp_le_u32_e32 vcc_lo, s18, v7
	s_wait_alu 0xfffd
	s_delay_alu instid0(VALU_DEP_2) | instskip(NEXT) | instid1(VALU_DEP_1)
	v_dual_cndmask_b32 v7, v7, v9 :: v_dual_cndmask_b32 v4, v4, v8
	v_cmp_le_u32_e32 vcc_lo, s18, v7
	s_delay_alu instid0(VALU_DEP_2) | instskip(SKIP_1) | instid1(VALU_DEP_1)
	v_add_nc_u32_e32 v8, 1, v4
	s_wait_alu 0xfffd
	v_dual_cndmask_b32 v7, v4, v8 :: v_dual_mov_b32 v8, v3
.LBB0_6:                                ;   in Loop: Header=BB0_2 Depth=1
	s_wait_alu 0xfffe
	s_or_b32 exec_lo, exec_lo, s2
	s_load_b64 s[20:21], s[12:13], 0x0
	s_delay_alu instid0(VALU_DEP_1)
	v_mul_lo_u32 v4, v8, s18
	v_mul_lo_u32 v11, v7, s19
	v_mad_co_u64_u32 v[9:10], null, v7, s18, 0
	s_add_nc_u64 s[14:15], s[14:15], 1
	s_add_nc_u64 s[12:13], s[12:13], 8
	s_wait_alu 0xfffe
	v_cmp_ge_u64_e64 s2, s[14:15], s[6:7]
	s_add_nc_u64 s[16:17], s[16:17], 8
	s_delay_alu instid0(VALU_DEP_2) | instskip(NEXT) | instid1(VALU_DEP_3)
	v_add3_u32 v4, v10, v11, v4
	v_sub_co_u32 v5, vcc_lo, v5, v9
	s_wait_alu 0xfffd
	s_delay_alu instid0(VALU_DEP_2) | instskip(SKIP_3) | instid1(VALU_DEP_2)
	v_sub_co_ci_u32_e32 v4, vcc_lo, v6, v4, vcc_lo
	s_and_b32 vcc_lo, exec_lo, s2
	s_wait_kmcnt 0x0
	v_mul_lo_u32 v6, s21, v5
	v_mul_lo_u32 v4, s20, v4
	v_mad_co_u64_u32 v[1:2], null, s20, v5, v[1:2]
	s_delay_alu instid0(VALU_DEP_1)
	v_add3_u32 v2, v6, v2, v4
	s_wait_alu 0xfffe
	s_cbranch_vccnz .LBB0_9
; %bb.7:                                ;   in Loop: Header=BB0_2 Depth=1
	v_dual_mov_b32 v5, v7 :: v_dual_mov_b32 v6, v8
	s_branch .LBB0_2
.LBB0_8:
	v_dual_mov_b32 v8, v6 :: v_dual_mov_b32 v7, v5
.LBB0_9:
	s_lshl_b64 s[2:3], s[6:7], 3
	v_mul_hi_u32 v5, 0x4924925, v0
	s_wait_alu 0xfffe
	s_add_nc_u64 s[2:3], s[10:11], s[2:3]
                                        ; implicit-def: $vgpr46_vgpr47
                                        ; implicit-def: $vgpr22_vgpr23
                                        ; implicit-def: $vgpr42_vgpr43
                                        ; implicit-def: $vgpr18_vgpr19
                                        ; implicit-def: $vgpr38_vgpr39
                                        ; implicit-def: $vgpr14_vgpr15
                                        ; implicit-def: $vgpr34_vgpr35
                                        ; implicit-def: $vgpr10_vgpr11
                                        ; implicit-def: $vgpr30_vgpr31
                                        ; implicit-def: $vgpr26_vgpr27
	s_load_b64 s[2:3], s[2:3], 0x0
	s_load_b64 s[0:1], s[0:1], 0x20
	s_wait_kmcnt 0x0
	v_mul_lo_u32 v3, s2, v8
	v_mul_lo_u32 v4, s3, v7
	v_mad_co_u64_u32 v[1:2], null, s2, v7, v[1:2]
	v_cmp_gt_u64_e32 vcc_lo, s[0:1], v[7:8]
                                        ; implicit-def: $vgpr6_vgpr7
	s_delay_alu instid0(VALU_DEP_2) | instskip(SKIP_1) | instid1(VALU_DEP_2)
	v_add3_u32 v2, v4, v2, v3
	v_mul_u32_u24_e32 v3, 56, v5
	v_lshlrev_b64_e32 v[50:51], 4, v[1:2]
	s_delay_alu instid0(VALU_DEP_2)
	v_sub_nc_u32_e32 v48, v0, v3
                                        ; implicit-def: $vgpr2_vgpr3
	s_and_saveexec_b32 s1, vcc_lo
; %bb.10:
	v_mov_b32_e32 v49, 0
	s_delay_alu instid0(VALU_DEP_3) | instskip(SKIP_2) | instid1(VALU_DEP_3)
	v_add_co_u32 v2, s0, s8, v50
	s_wait_alu 0xf1ff
	v_add_co_ci_u32_e64 v3, s0, s9, v51, s0
	v_lshlrev_b64_e32 v[0:1], 4, v[48:49]
	s_delay_alu instid0(VALU_DEP_1) | instskip(SKIP_1) | instid1(VALU_DEP_2)
	v_add_co_u32 v44, s0, v2, v0
	s_wait_alu 0xf1ff
	v_add_co_ci_u32_e64 v45, s0, v3, v1, s0
	s_clause 0xb
	global_load_b128 v[0:3], v[44:45], off
	global_load_b128 v[4:7], v[44:45], off offset:896
	global_load_b128 v[24:27], v[44:45], off offset:5376
	global_load_b128 v[28:31], v[44:45], off offset:6272
	global_load_b128 v[8:11], v[44:45], off offset:1792
	global_load_b128 v[12:15], v[44:45], off offset:2688
	global_load_b128 v[32:35], v[44:45], off offset:7168
	global_load_b128 v[36:39], v[44:45], off offset:8064
	global_load_b128 v[16:19], v[44:45], off offset:3584
	global_load_b128 v[20:23], v[44:45], off offset:4480
	global_load_b128 v[40:43], v[44:45], off offset:8960
	global_load_b128 v[44:47], v[44:45], off offset:9856
; %bb.11:
	s_wait_alu 0xfffe
	s_or_b32 exec_lo, exec_lo, s1
	s_wait_loadcnt 0x9
	v_add_f64_e64 v[54:55], v[0:1], -v[24:25]
	v_add_f64_e64 v[58:59], v[2:3], -v[26:27]
	s_wait_loadcnt 0x8
	v_add_f64_e64 v[28:29], v[4:5], -v[28:29]
	v_add_f64_e64 v[62:63], v[6:7], -v[30:31]
	s_wait_loadcnt 0x5
	v_add_f64_e64 v[32:33], v[8:9], -v[32:33]
	v_add_f64_e64 v[66:67], v[10:11], -v[34:35]
	s_wait_loadcnt 0x4
	v_add_f64_e64 v[36:37], v[12:13], -v[36:37]
	v_add_f64_e64 v[70:71], v[14:15], -v[38:39]
	s_wait_loadcnt 0x1
	v_add_f64_e64 v[40:41], v[16:17], -v[40:41]
	v_add_f64_e64 v[77:78], v[18:19], -v[42:43]
	s_wait_loadcnt 0x0
	v_add_f64_e64 v[44:45], v[20:21], -v[44:45]
	v_add_f64_e64 v[24:25], v[22:23], -v[46:47]
	v_and_b32_e32 v80, 1, v48
	v_add_nc_u32_e32 v72, 56, v48
	v_add_nc_u32_e32 v79, 0xe0, v48
	v_and_b32_e32 v85, 15, v48
	v_and_b32_e32 v109, 31, v48
	v_lshlrev_b32_e32 v83, 4, v80
	v_and_b32_e32 v110, 31, v72
	v_lshl_add_u32 v81, v79, 4, 0
	s_mov_b32 s2, 0xe8584caa
	s_mov_b32 s3, 0x3febb67a
	;; [unrolled: 1-line block ×3, first 2 shown]
	s_wait_alu 0xfffe
	s_mov_b32 s6, s2
	v_cmp_gt_u32_e64 s0, 40, v48
	v_fma_f64 v[52:53], v[0:1], 2.0, -v[54:55]
	v_fma_f64 v[56:57], v[2:3], 2.0, -v[58:59]
	;; [unrolled: 1-line block ×12, first 2 shown]
	v_lshl_add_u32 v5, v48, 4, 0
	v_lshlrev_b32_e32 v0, 3, v48
	v_add_nc_u32_e32 v12, 0x70, v48
	v_add_nc_u32_e32 v13, 0xa8, v48
	;; [unrolled: 1-line block ×3, first 2 shown]
	v_lshl_add_u32 v6, v72, 4, 0
	v_sub_nc_u32_e32 v49, v5, v0
	v_lshl_add_u32 v46, v12, 4, 0
	v_lshl_add_u32 v47, v13, 4, 0
	;; [unrolled: 1-line block ×3, first 2 shown]
	v_and_b32_e32 v86, 15, v7
	v_add_nc_u32_e32 v73, 0x800, v49
	v_add_nc_u32_e32 v74, 0x400, v49
	;; [unrolled: 1-line block ×3, first 2 shown]
	v_and_b32_e32 v87, 15, v13
	v_and_b32_e32 v111, 31, v12
	;; [unrolled: 1-line block ×3, first 2 shown]
	ds_store_b128 v5, v[52:55]
	ds_store_b128 v6, v[26:29]
	;; [unrolled: 1-line block ×6, first 2 shown]
	global_wb scope:SCOPE_SE
	s_wait_dscnt 0x0
	s_barrier_signal -1
	s_barrier_wait -1
	global_inv scope:SCOPE_SE
	ds_load_2addr_b64 v[1:4], v49 offset1:56
	ds_load_2addr_b64 v[8:11], v73 offset0:80 offset1:136
	ds_load_2addr_b64 v[14:17], v49 offset0:112 offset1:168
	;; [unrolled: 1-line block ×5, first 2 shown]
	global_wb scope:SCOPE_SE
	s_wait_dscnt 0x0
	s_barrier_signal -1
	s_barrier_wait -1
	global_inv scope:SCOPE_SE
	ds_store_b128 v5, v[56:59]
	ds_store_b128 v6, v[60:63]
	;; [unrolled: 1-line block ×6, first 2 shown]
	global_wb scope:SCOPE_SE
	s_wait_dscnt 0x0
	s_barrier_signal -1
	s_barrier_wait -1
	global_inv scope:SCOPE_SE
	global_load_b128 v[22:25], v83, s[4:5]
	ds_load_2addr_b64 v[34:37], v73 offset0:80 offset1:136
	ds_load_2addr_b64 v[38:41], v73 offset0:192 offset1:248
	;; [unrolled: 1-line block ×3, first 2 shown]
	v_and_b32_e32 v81, 3, v48
	s_delay_alu instid0(VALU_DEP_1)
	v_lshlrev_b32_e32 v77, 4, v81
	s_wait_loadcnt_dscnt 0x2
	v_mul_f64_e32 v[5:6], v[34:35], v[24:25]
	v_mul_f64_e32 v[60:61], v[8:9], v[24:25]
	;; [unrolled: 1-line block ×4, first 2 shown]
	s_wait_dscnt 0x1
	v_mul_f64_e32 v[52:53], v[38:39], v[24:25]
	v_mul_f64_e32 v[64:65], v[18:19], v[24:25]
	;; [unrolled: 1-line block ×4, first 2 shown]
	s_wait_dscnt 0x0
	v_mul_f64_e32 v[56:57], v[42:43], v[24:25]
	v_mul_f64_e32 v[68:69], v[30:31], v[24:25]
	;; [unrolled: 1-line block ×4, first 2 shown]
	v_fma_f64 v[5:6], v[8:9], v[22:23], -v[5:6]
	v_fma_f64 v[34:35], v[34:35], v[22:23], v[60:61]
	v_fma_f64 v[46:47], v[10:11], v[22:23], -v[46:47]
	v_fma_f64 v[36:37], v[36:37], v[22:23], v[62:63]
	;; [unrolled: 2-line block ×6, first 2 shown]
	ds_load_2addr_b64 v[8:11], v49 offset1:56
	ds_load_2addr_b64 v[18:21], v49 offset0:112 offset1:168
	ds_load_2addr_b64 v[22:25], v74 offset0:96 offset1:152
	global_wb scope:SCOPE_SE
	s_wait_dscnt 0x0
	s_barrier_signal -1
	s_barrier_wait -1
	global_inv scope:SCOPE_SE
	v_add_f64_e64 v[56:57], v[1:2], -v[5:6]
	v_add_f64_e64 v[34:35], v[8:9], -v[34:35]
	;; [unrolled: 1-line block ×12, first 2 shown]
	v_lshlrev_b32_e32 v6, 1, v48
	v_lshlrev_b32_e32 v5, 1, v7
	s_delay_alu instid0(VALU_DEP_2) | instskip(NEXT) | instid1(VALU_DEP_1)
	v_and_or_b32 v62, 0x7c, v6, v80
	v_lshl_add_u32 v78, v62, 3, 0
	v_fma_f64 v[58:59], v[1:2], 2.0, -v[56:57]
	v_fma_f64 v[62:63], v[8:9], 2.0, -v[34:35]
	;; [unrolled: 1-line block ×12, first 2 shown]
	v_lshlrev_b32_e32 v1, 1, v72
	v_lshlrev_b32_e32 v2, 1, v12
	;; [unrolled: 1-line block ×4, first 2 shown]
	v_and_or_b32 v10, 0x2fc, v5, v80
	v_and_or_b32 v79, 0xfc, v1, v80
	;; [unrolled: 1-line block ×5, first 2 shown]
	v_lshl_add_u32 v84, v10, 3, 0
	v_lshl_add_u32 v79, v79, 3, 0
	;; [unrolled: 1-line block ×5, first 2 shown]
	ds_store_2addr_b64 v78, v[58:59], v[56:57] offset1:2
	ds_store_2addr_b64 v79, v[60:61], v[46:47] offset1:2
	;; [unrolled: 1-line block ×6, first 2 shown]
	global_wb scope:SCOPE_SE
	s_wait_dscnt 0x0
	s_barrier_signal -1
	s_barrier_wait -1
	global_inv scope:SCOPE_SE
	ds_load_2addr_b64 v[8:11], v49 offset1:56
	ds_load_2addr_b64 v[14:17], v73 offset0:80 offset1:136
	ds_load_2addr_b64 v[18:21], v49 offset0:112 offset1:168
	ds_load_2addr_b64 v[22:25], v73 offset0:192 offset1:248
	ds_load_2addr_b64 v[26:29], v74 offset0:96 offset1:152
	ds_load_2addr_b64 v[30:33], v0 offset0:48 offset1:104
	global_wb scope:SCOPE_SE
	s_wait_dscnt 0x0
	s_barrier_signal -1
	s_barrier_wait -1
	global_inv scope:SCOPE_SE
	ds_store_2addr_b64 v78, v[62:63], v[34:35] offset1:2
	ds_store_2addr_b64 v79, v[64:65], v[36:37] offset1:2
	;; [unrolled: 1-line block ×6, first 2 shown]
	global_wb scope:SCOPE_SE
	s_wait_dscnt 0x0
	s_barrier_signal -1
	s_barrier_wait -1
	global_inv scope:SCOPE_SE
	global_load_b128 v[34:37], v77, s[4:5] offset:32
	ds_load_2addr_b64 v[38:41], v73 offset0:80 offset1:136
	ds_load_2addr_b64 v[42:45], v73 offset0:192 offset1:248
	;; [unrolled: 1-line block ×3, first 2 shown]
	v_and_b32_e32 v79, 7, v48
	v_and_or_b32 v80, 0xf8, v1, v81
	v_and_or_b32 v82, 0x1f8, v2, v81
	v_lshrrev_b32_e32 v12, 5, v12
	v_lshrrev_b32_e32 v13, 5, v13
	v_and_or_b32 v7, 0xf0, v1, v79
	v_lshl_add_u32 v80, v80, 3, 0
	s_delay_alu instid0(VALU_DEP_4) | instskip(NEXT) | instid1(VALU_DEP_4)
	v_mul_u32_u24_e32 v12, 0x60, v12
	v_mul_u32_u24_e32 v13, 0x60, v13
	s_delay_alu instid0(VALU_DEP_2) | instskip(NEXT) | instid1(VALU_DEP_2)
	v_or_b32_e32 v12, v12, v111
	v_or_b32_e32 v13, v13, v112
	s_wait_loadcnt_dscnt 0x2
	v_mul_f64_e32 v[46:47], v[38:39], v[36:37]
	v_mul_f64_e32 v[66:67], v[14:15], v[36:37]
	;; [unrolled: 1-line block ×4, first 2 shown]
	s_wait_dscnt 0x1
	v_mul_f64_e32 v[58:59], v[42:43], v[36:37]
	v_mul_f64_e32 v[70:71], v[22:23], v[36:37]
	;; [unrolled: 1-line block ×4, first 2 shown]
	s_wait_dscnt 0x0
	v_mul_f64_e32 v[62:63], v[52:53], v[36:37]
	v_mul_f64_e32 v[77:78], v[30:31], v[36:37]
	;; [unrolled: 1-line block ×4, first 2 shown]
	v_fma_f64 v[46:47], v[14:15], v[34:35], -v[46:47]
	v_fma_f64 v[38:39], v[38:39], v[34:35], v[66:67]
	v_fma_f64 v[56:57], v[16:17], v[34:35], -v[56:57]
	v_fma_f64 v[40:41], v[40:41], v[34:35], v[68:69]
	;; [unrolled: 2-line block ×6, first 2 shown]
	ds_load_2addr_b64 v[14:17], v49 offset1:56
	ds_load_2addr_b64 v[22:25], v49 offset0:112 offset1:168
	ds_load_2addr_b64 v[30:33], v74 offset0:96 offset1:152
	v_lshlrev_b32_e32 v77, 4, v79
	global_wb scope:SCOPE_SE
	s_wait_dscnt 0x0
	s_barrier_signal -1
	s_barrier_wait -1
	global_inv scope:SCOPE_SE
	v_add_f64_e64 v[36:37], v[8:9], -v[46:47]
	v_add_f64_e64 v[38:39], v[14:15], -v[38:39]
	;; [unrolled: 1-line block ×12, first 2 shown]
	v_and_or_b32 v62, 0x78, v6, v81
	s_delay_alu instid0(VALU_DEP_1)
	v_lshl_add_u32 v78, v62, 3, 0
	v_fma_f64 v[8:9], v[8:9], 2.0, -v[36:37]
	v_fma_f64 v[62:63], v[14:15], 2.0, -v[38:39]
	;; [unrolled: 1-line block ×12, first 2 shown]
	v_and_or_b32 v14, 0x1f8, v3, v81
	v_and_or_b32 v15, 0x3f8, v4, v81
	;; [unrolled: 1-line block ×3, first 2 shown]
	v_lshl_add_u32 v81, v82, 3, 0
	s_delay_alu instid0(VALU_DEP_4) | instskip(NEXT) | instid1(VALU_DEP_4)
	v_lshl_add_u32 v82, v14, 3, 0
	v_lshl_add_u32 v83, v15, 3, 0
	s_delay_alu instid0(VALU_DEP_4)
	v_lshl_add_u32 v84, v16, 3, 0
	ds_store_2addr_b64 v78, v[8:9], v[36:37] offset1:4
	ds_store_2addr_b64 v80, v[10:11], v[46:47] offset1:4
	;; [unrolled: 1-line block ×6, first 2 shown]
	global_wb scope:SCOPE_SE
	s_wait_dscnt 0x0
	s_barrier_signal -1
	s_barrier_wait -1
	global_inv scope:SCOPE_SE
	ds_load_2addr_b64 v[8:11], v49 offset1:56
	ds_load_2addr_b64 v[14:17], v73 offset0:80 offset1:136
	ds_load_2addr_b64 v[18:21], v49 offset0:112 offset1:168
	;; [unrolled: 1-line block ×5, first 2 shown]
	global_wb scope:SCOPE_SE
	s_wait_dscnt 0x0
	s_barrier_signal -1
	s_barrier_wait -1
	global_inv scope:SCOPE_SE
	ds_store_2addr_b64 v78, v[62:63], v[38:39] offset1:4
	ds_store_2addr_b64 v80, v[64:65], v[40:41] offset1:4
	;; [unrolled: 1-line block ×6, first 2 shown]
	global_wb scope:SCOPE_SE
	s_wait_dscnt 0x0
	s_barrier_signal -1
	s_barrier_wait -1
	global_inv scope:SCOPE_SE
	global_load_b128 v[34:37], v77, s[4:5] offset:96
	ds_load_2addr_b64 v[38:41], v73 offset0:80 offset1:136
	ds_load_2addr_b64 v[42:45], v73 offset0:192 offset1:248
	;; [unrolled: 1-line block ×3, first 2 shown]
	v_and_or_b32 v80, 0x1f0, v2, v79
	v_and_or_b32 v81, 0x1f0, v3, v79
	;; [unrolled: 1-line block ×3, first 2 shown]
	v_lshl_add_u32 v84, v7, 3, 0
	v_lshlrev_b32_e32 v83, 4, v87
	v_lshl_add_u32 v80, v80, 3, 0
	v_lshl_add_u32 v81, v81, 3, 0
	;; [unrolled: 1-line block ×3, first 2 shown]
	v_and_or_b32 v2, 0x1e0, v2, v85
	v_and_or_b32 v3, 0x1e0, v3, v87
	;; [unrolled: 1-line block ×3, first 2 shown]
	s_wait_loadcnt_dscnt 0x2
	v_mul_f64_e32 v[46:47], v[38:39], v[36:37]
	v_mul_f64_e32 v[66:67], v[14:15], v[36:37]
	;; [unrolled: 1-line block ×4, first 2 shown]
	s_wait_dscnt 0x1
	v_mul_f64_e32 v[58:59], v[42:43], v[36:37]
	v_mul_f64_e32 v[70:71], v[22:23], v[36:37]
	v_mul_f64_e32 v[60:61], v[44:45], v[36:37]
	v_mul_f64_e32 v[75:76], v[24:25], v[36:37]
	s_wait_dscnt 0x0
	v_mul_f64_e32 v[62:63], v[52:53], v[36:37]
	v_mul_f64_e32 v[77:78], v[30:31], v[36:37]
	;; [unrolled: 1-line block ×4, first 2 shown]
	v_fma_f64 v[46:47], v[14:15], v[34:35], -v[46:47]
	v_fma_f64 v[38:39], v[38:39], v[34:35], v[66:67]
	v_fma_f64 v[56:57], v[16:17], v[34:35], -v[56:57]
	v_fma_f64 v[40:41], v[40:41], v[34:35], v[68:69]
	;; [unrolled: 2-line block ×6, first 2 shown]
	ds_load_2addr_b64 v[14:17], v49 offset1:56
	ds_load_2addr_b64 v[22:25], v49 offset0:112 offset1:168
	ds_load_2addr_b64 v[30:33], v74 offset0:96 offset1:152
	v_lshlrev_b32_e32 v77, 4, v85
	global_wb scope:SCOPE_SE
	s_wait_dscnt 0x0
	s_barrier_signal -1
	s_barrier_wait -1
	global_inv scope:SCOPE_SE
	v_add_f64_e64 v[36:37], v[8:9], -v[46:47]
	v_add_f64_e64 v[38:39], v[14:15], -v[38:39]
	;; [unrolled: 1-line block ×12, first 2 shown]
	v_and_or_b32 v62, 0x70, v6, v79
	v_and_or_b32 v6, 0x60, v6, v85
	s_delay_alu instid0(VALU_DEP_2)
	v_lshl_add_u32 v78, v62, 3, 0
	v_fma_f64 v[8:9], v[8:9], 2.0, -v[36:37]
	v_fma_f64 v[62:63], v[14:15], 2.0, -v[38:39]
	;; [unrolled: 1-line block ×12, first 2 shown]
	v_and_or_b32 v14, 0x2f0, v5, v79
	v_lshlrev_b32_e32 v79, 4, v86
	v_and_or_b32 v5, 0x2e0, v5, v86
	s_delay_alu instid0(VALU_DEP_3)
	v_lshl_add_u32 v88, v14, 3, 0
	ds_store_2addr_b64 v78, v[8:9], v[36:37] offset1:8
	ds_store_2addr_b64 v84, v[10:11], v[46:47] offset1:8
	;; [unrolled: 1-line block ×6, first 2 shown]
	global_wb scope:SCOPE_SE
	s_wait_dscnt 0x0
	s_barrier_signal -1
	s_barrier_wait -1
	global_inv scope:SCOPE_SE
	ds_load_2addr_b64 v[7:10], v49 offset1:56
	ds_load_2addr_b64 v[14:17], v73 offset0:80 offset1:136
	ds_load_2addr_b64 v[18:21], v49 offset0:112 offset1:168
	;; [unrolled: 1-line block ×5, first 2 shown]
	global_wb scope:SCOPE_SE
	s_wait_dscnt 0x0
	s_barrier_signal -1
	s_barrier_wait -1
	global_inv scope:SCOPE_SE
	ds_store_2addr_b64 v78, v[62:63], v[38:39] offset1:8
	ds_store_2addr_b64 v84, v[64:65], v[40:41] offset1:8
	;; [unrolled: 1-line block ×6, first 2 shown]
	global_wb scope:SCOPE_SE
	s_wait_dscnt 0x0
	s_barrier_signal -1
	s_barrier_wait -1
	global_inv scope:SCOPE_SE
	s_clause 0x3
	global_load_b128 v[34:37], v77, s[4:5] offset:224
	global_load_b128 v[38:41], v79, s[4:5] offset:224
	global_load_b128 v[42:45], v83, s[4:5] offset:224
	global_load_b64 v[46:47], v79, s[4:5] offset:232
	v_and_b32_e32 v11, 15, v72
	s_delay_alu instid0(VALU_DEP_1)
	v_lshlrev_b32_e32 v52, 4, v11
	v_and_or_b32 v1, 0xe0, v1, v11
	v_lshlrev_b32_e32 v11, 5, v110
	global_load_b64 v[64:65], v52, s[4:5] offset:224
	ds_load_2addr_b64 v[52:55], v73 offset0:80 offset1:136
	ds_load_2addr_b64 v[56:59], v73 offset0:192 offset1:248
	;; [unrolled: 1-line block ×3, first 2 shown]
	s_wait_loadcnt_dscnt 0x402
	v_mul_f64_e32 v[66:67], v[52:53], v[36:37]
	v_mul_f64_e32 v[81:82], v[14:15], v[36:37]
	s_wait_loadcnt 0x3
	v_mul_f64_e32 v[68:69], v[54:55], v[40:41]
	v_mul_f64_e32 v[40:41], v[16:17], v[40:41]
	s_wait_dscnt 0x1
	v_mul_f64_e32 v[70:71], v[56:57], v[36:37]
	v_mul_f64_e32 v[83:84], v[22:23], v[36:37]
	s_wait_loadcnt 0x2
	v_mul_f64_e32 v[75:76], v[58:59], v[44:45]
	v_mul_f64_e32 v[44:45], v[24:25], v[44:45]
	s_wait_dscnt 0x0
	v_mul_f64_e32 v[77:78], v[60:61], v[36:37]
	v_mul_f64_e32 v[36:37], v[30:31], v[36:37]
	s_wait_loadcnt 0x1
	v_mul_f64_e32 v[79:80], v[62:63], v[46:47]
	v_mul_f64_e32 v[46:47], v[32:33], v[46:47]
	v_fma_f64 v[66:67], v[14:15], v[34:35], -v[66:67]
	v_fma_f64 v[52:53], v[52:53], v[34:35], v[81:82]
	s_wait_loadcnt 0x0
	v_fma_f64 v[68:69], v[16:17], v[64:65], -v[68:69]
	v_fma_f64 v[40:41], v[54:55], v[64:65], v[40:41]
	v_fma_f64 v[70:71], v[22:23], v[34:35], -v[70:71]
	v_fma_f64 v[54:55], v[56:57], v[34:35], v[83:84]
	;; [unrolled: 2-line block ×5, first 2 shown]
	ds_load_2addr_b64 v[14:17], v49 offset1:56
	ds_load_2addr_b64 v[22:25], v49 offset0:112 offset1:168
	ds_load_2addr_b64 v[30:33], v74 offset0:96 offset1:152
	v_lshl_add_u32 v81, v3, 3, 0
	v_lshl_add_u32 v82, v4, 3, 0
	;; [unrolled: 1-line block ×3, first 2 shown]
	global_wb scope:SCOPE_SE
	s_wait_dscnt 0x0
	s_barrier_signal -1
	s_barrier_wait -1
	global_inv scope:SCOPE_SE
	v_add_f64_e64 v[38:39], v[7:8], -v[66:67]
	v_add_f64_e64 v[52:53], v[14:15], -v[52:53]
	;; [unrolled: 1-line block ×12, first 2 shown]
	v_lshlrev_b32_e32 v75, 5, v109
	v_lshl_add_u32 v76, v6, 3, 0
	v_lshl_add_u32 v78, v1, 3, 0
	;; [unrolled: 1-line block ×3, first 2 shown]
	v_lshlrev_b32_e32 v77, 5, v111
	v_lshlrev_b32_e32 v79, 5, v112
	v_fma_f64 v[7:8], v[7:8], 2.0, -v[38:39]
	v_fma_f64 v[64:65], v[14:15], 2.0, -v[52:53]
	;; [unrolled: 1-line block ×12, first 2 shown]
	ds_store_2addr_b64 v76, v[7:8], v[38:39] offset1:16
	ds_store_2addr_b64 v78, v[9:10], v[44:45] offset1:16
	ds_store_2addr_b64 v80, v[18:19], v[46:47] offset1:16
	ds_store_2addr_b64 v81, v[20:21], v[56:57] offset1:16
	ds_store_2addr_b64 v82, v[26:27], v[58:59] offset1:16
	ds_store_2addr_b64 v83, v[28:29], v[60:61] offset1:16
	global_wb scope:SCOPE_SE
	s_wait_dscnt 0x0
	s_barrier_signal -1
	s_barrier_wait -1
	global_inv scope:SCOPE_SE
	ds_load_2addr_b64 v[1:4], v49 offset1:56
	ds_load_2addr_b64 v[5:8], v74 offset0:96 offset1:152
	ds_load_2addr_b64 v[14:17], v73 offset0:192 offset1:248
	;; [unrolled: 1-line block ×5, first 2 shown]
	global_wb scope:SCOPE_SE
	s_wait_dscnt 0x0
	s_barrier_signal -1
	s_barrier_wait -1
	global_inv scope:SCOPE_SE
	ds_store_2addr_b64 v76, v[64:65], v[52:53] offset1:16
	ds_store_2addr_b64 v78, v[66:67], v[40:41] offset1:16
	;; [unrolled: 1-line block ×6, first 2 shown]
	global_wb scope:SCOPE_SE
	s_wait_dscnt 0x0
	s_barrier_signal -1
	s_barrier_wait -1
	global_inv scope:SCOPE_SE
	s_clause 0x7
	global_load_b128 v[36:39], v75, s[4:5] offset:480
	global_load_b128 v[44:47], v75, s[4:5] offset:496
	;; [unrolled: 1-line block ×8, first 2 shown]
	ds_load_2addr_b64 v[64:67], v74 offset0:96 offset1:152
	ds_load_2addr_b64 v[83:86], v73 offset0:192 offset1:248
	;; [unrolled: 1-line block ×4, first 2 shown]
	s_wait_loadcnt_dscnt 0x703
	v_mul_f64_e32 v[9:10], v[64:65], v[38:39]
	s_wait_loadcnt_dscnt 0x602
	v_mul_f64_e32 v[22:23], v[83:84], v[46:47]
	s_wait_loadcnt 0x5
	v_mul_f64_e32 v[28:29], v[66:67], v[54:55]
	s_wait_loadcnt 0x4
	v_mul_f64_e32 v[30:31], v[85:86], v[58:59]
	s_wait_loadcnt_dscnt 0x301
	v_mul_f64_e32 v[40:41], v[87:88], v[62:63]
	s_wait_loadcnt_dscnt 0x200
	v_mul_f64_e32 v[95:96], v[91:92], v[70:71]
	s_wait_loadcnt 0x1
	v_mul_f64_e32 v[97:98], v[89:90], v[77:78]
	s_wait_loadcnt 0x0
	v_mul_f64_e32 v[99:100], v[93:94], v[81:82]
	v_mul_f64_e32 v[38:39], v[5:6], v[38:39]
	;; [unrolled: 1-line block ×9, first 2 shown]
	v_fma_f64 v[54:55], v[5:6], v[36:37], -v[9:10]
	v_fma_f64 v[58:59], v[14:15], v[44:45], -v[22:23]
	;; [unrolled: 1-line block ×8, first 2 shown]
	v_fma_f64 v[62:63], v[64:65], v[36:37], v[38:39]
	v_fma_f64 v[22:23], v[83:84], v[44:45], v[101:102]
	;; [unrolled: 1-line block ×8, first 2 shown]
	v_lshl_add_u32 v76, v12, 3, 0
	v_lshl_add_u32 v75, v13, 3, 0
	v_add_f64_e32 v[16:17], v[1:2], v[54:55]
	v_add_f64_e32 v[5:6], v[54:55], v[58:59]
	;; [unrolled: 1-line block ×8, first 2 shown]
	v_add_f64_e64 v[18:19], v[62:63], -v[22:23]
	v_add_f64_e64 v[38:39], v[64:65], -v[44:45]
	v_fma_f64 v[0:1], v[5:6], -0.5, v[1:2]
	v_fma_f64 v[2:3], v[7:8], -0.5, v[3:4]
	v_add_f64_e64 v[6:7], v[66:67], -v[60:61]
	v_fma_f64 v[8:9], v[9:10], -0.5, v[24:25]
	v_add_f64_e64 v[10:11], v[70:71], -v[68:69]
	v_fma_f64 v[14:15], v[14:15], -0.5, v[26:27]
	v_add_f64_e32 v[24:25], v[16:17], v[58:59]
	v_add_f64_e32 v[26:27], v[32:33], v[42:43]
	;; [unrolled: 1-line block ×4, first 2 shown]
	v_fma_f64 v[34:35], v[18:19], s[2:3], v[0:1]
	s_wait_alu 0xfffe
	v_fma_f64 v[36:37], v[18:19], s[6:7], v[0:1]
	v_fma_f64 v[52:53], v[38:39], s[2:3], v[2:3]
	;; [unrolled: 1-line block ×7, first 2 shown]
	v_lshrrev_b32_e32 v10, 5, v48
	v_lshrrev_b32_e32 v11, 5, v72
	ds_load_2addr_b64 v[16:19], v49 offset1:56
	ds_load_2addr_b64 v[12:15], v49 offset0:112 offset1:168
	global_wb scope:SCOPE_SE
	s_wait_dscnt 0x0
	s_barrier_signal -1
	v_mul_u32_u24_e32 v10, 0x60, v10
	v_mul_u32_u24_e32 v11, 0x60, v11
	s_barrier_wait -1
	global_inv scope:SCOPE_SE
	v_or_b32_e32 v10, v10, v109
	v_or_b32_e32 v11, v11, v110
	s_delay_alu instid0(VALU_DEP_2) | instskip(NEXT) | instid1(VALU_DEP_2)
	v_lshl_add_u32 v78, v10, 3, 0
	v_lshl_add_u32 v77, v11, 3, 0
	ds_store_2addr_b64 v78, v[24:25], v[34:35] offset1:32
	ds_store_b64 v78, v[36:37] offset:512
	ds_store_2addr_b64 v77, v[26:27], v[52:53] offset1:32
	ds_store_b64 v77, v[38:39] offset:512
	;; [unrolled: 2-line block ×4, first 2 shown]
	global_wb scope:SCOPE_SE
	s_wait_dscnt 0x0
	s_barrier_signal -1
	s_barrier_wait -1
	global_inv scope:SCOPE_SE
	ds_load_2addr_b64 v[24:27], v49 offset1:96
	ds_load_2addr_b64 v[32:35], v74 offset0:64 offset1:160
	ds_load_2addr_b64 v[36:39], v73 offset0:128 offset1:224
	ds_load_b64 v[56:57], v49 offset:4608
                                        ; implicit-def: $vgpr52_vgpr53
	s_and_saveexec_b32 s1, s0
	s_cbranch_execz .LBB0_13
; %bb.12:
	v_add_nc_u32_e32 v8, 0xc00, v49
	ds_load_2addr_b64 v[0:3], v49 offset0:56 offset1:152
	ds_load_2addr_b64 v[4:7], v74 offset0:120 offset1:216
	;; [unrolled: 1-line block ×3, first 2 shown]
	ds_load_b64 v[52:53], v49 offset:5056
.LBB0_13:
	s_wait_alu 0xfffe
	s_or_b32 exec_lo, exec_lo, s1
	v_add_f64_e32 v[79:80], v[62:63], v[22:23]
	v_add_f64_e32 v[81:82], v[64:65], v[44:45]
	;; [unrolled: 1-line block ×5, first 2 shown]
	v_add_f64_e64 v[54:55], v[54:55], -v[58:59]
	v_add_f64_e32 v[58:59], v[18:19], v[64:65]
	v_add_f64_e32 v[64:65], v[12:13], v[66:67]
	;; [unrolled: 1-line block ×3, first 2 shown]
	v_add_f64_e64 v[28:29], v[28:29], -v[42:43]
	v_add_f64_e64 v[30:31], v[30:31], -v[46:47]
	;; [unrolled: 1-line block ×3, first 2 shown]
	global_wb scope:SCOPE_SE
	s_wait_dscnt 0x0
	s_barrier_signal -1
	s_barrier_wait -1
	global_inv scope:SCOPE_SE
	v_fma_f64 v[70:71], v[79:80], -0.5, v[16:17]
	v_fma_f64 v[18:19], v[81:82], -0.5, v[18:19]
	;; [unrolled: 1-line block ×4, first 2 shown]
	v_add_f64_e32 v[22:23], v[62:63], v[22:23]
	v_add_f64_e32 v[44:45], v[58:59], v[44:45]
	;; [unrolled: 1-line block ×4, first 2 shown]
	v_fma_f64 v[58:59], v[54:55], s[6:7], v[70:71]
	v_fma_f64 v[54:55], v[54:55], s[2:3], v[70:71]
	;; [unrolled: 1-line block ×8, first 2 shown]
	ds_store_2addr_b64 v78, v[22:23], v[58:59] offset1:32
	ds_store_b64 v78, v[54:55] offset:512
	ds_store_2addr_b64 v77, v[44:45], v[60:61] offset1:32
	ds_store_b64 v77, v[28:29] offset:512
	;; [unrolled: 2-line block ×4, first 2 shown]
	global_wb scope:SCOPE_SE
	s_wait_dscnt 0x0
	s_barrier_signal -1
	s_barrier_wait -1
	global_inv scope:SCOPE_SE
	ds_load_2addr_b64 v[28:31], v49 offset1:96
	ds_load_2addr_b64 v[40:43], v74 offset0:64 offset1:160
	ds_load_2addr_b64 v[44:47], v73 offset0:128 offset1:224
	ds_load_b64 v[58:59], v49 offset:4608
                                        ; implicit-def: $vgpr54_vgpr55
	s_and_saveexec_b32 s1, s0
	s_cbranch_execz .LBB0_15
; %bb.14:
	v_add_nc_u32_e32 v16, 0x400, v49
	v_add_nc_u32_e32 v20, 0xc00, v49
	ds_load_2addr_b64 v[12:15], v49 offset0:56 offset1:152
	ds_load_2addr_b64 v[16:19], v16 offset0:120 offset1:216
	;; [unrolled: 1-line block ×3, first 2 shown]
	ds_load_b64 v[54:55], v49 offset:5056
.LBB0_15:
	s_wait_alu 0xfffe
	s_or_b32 exec_lo, exec_lo, s1
	s_and_saveexec_b32 s1, vcc_lo
	s_cbranch_execz .LBB0_18
; %bb.16:
	v_mul_u32_u24_e32 v49, 6, v48
	s_mov_b32 s18, 0xe976ee23
	s_mov_b32 s22, 0x37e14327
	;; [unrolled: 1-line block ×4, first 2 shown]
	v_lshlrev_b32_e32 v49, 4, v49
	s_mov_b32 s19, 0xbfe11646
	s_mov_b32 s23, 0x3fe948f6
	;; [unrolled: 1-line block ×4, first 2 shown]
	s_clause 0x5
	global_load_b128 v[60:63], v49, s[4:5] offset:1584
	global_load_b128 v[64:67], v49, s[4:5] offset:1504
	;; [unrolled: 1-line block ×6, first 2 shown]
	s_mov_b32 s20, 0xb247c609
	s_mov_b32 s10, 0xaaaaaaaa
	;; [unrolled: 1-line block ×8, first 2 shown]
	s_wait_alu 0xfffe
	s_mov_b32 s14, s20
	s_mov_b32 s16, s12
	;; [unrolled: 1-line block ×4, first 2 shown]
	v_mov_b32_e32 v49, 0
	s_wait_loadcnt 0x5
	v_mul_f64_e32 v[85:86], v[56:57], v[62:63]
	s_wait_loadcnt 0x4
	v_mul_f64_e32 v[87:88], v[26:27], v[66:67]
	;; [unrolled: 2-line block ×4, first 2 shown]
	s_wait_dscnt 0x3
	v_mul_f64_e32 v[66:67], v[30:31], v[66:67]
	s_wait_dscnt 0x0
	v_mul_f64_e32 v[62:63], v[58:59], v[62:63]
	v_mul_f64_e32 v[75:76], v[40:41], v[75:76]
	;; [unrolled: 1-line block ×3, first 2 shown]
	s_wait_loadcnt 0x1
	v_mul_f64_e32 v[93:94], v[44:45], v[79:80]
	s_wait_loadcnt 0x0
	v_mul_f64_e32 v[95:96], v[42:43], v[83:84]
	v_mul_f64_e32 v[83:84], v[34:35], v[83:84]
	;; [unrolled: 1-line block ×3, first 2 shown]
	v_fma_f64 v[58:59], v[58:59], v[60:61], v[85:86]
	v_fma_f64 v[30:31], v[30:31], v[64:65], v[87:88]
	;; [unrolled: 1-line block ×4, first 2 shown]
	v_fma_f64 v[26:27], v[26:27], v[64:65], -v[66:67]
	v_fma_f64 v[56:57], v[56:57], v[60:61], -v[62:63]
	v_fma_f64 v[32:33], v[32:33], v[73:74], -v[75:76]
	v_fma_f64 v[38:39], v[38:39], v[68:69], -v[70:71]
	v_fma_f64 v[36:37], v[36:37], v[77:78], -v[93:94]
	v_fma_f64 v[34:35], v[34:35], v[81:82], -v[95:96]
	v_fma_f64 v[42:43], v[42:43], v[81:82], v[83:84]
	v_fma_f64 v[44:45], v[44:45], v[77:78], v[79:80]
	v_add_f64_e32 v[60:61], v[30:31], v[58:59]
	v_add_f64_e64 v[30:31], v[30:31], -v[58:59]
	v_add_f64_e32 v[62:63], v[40:41], v[46:47]
	v_add_f64_e64 v[40:41], v[40:41], -v[46:47]
	v_add_f64_e32 v[64:65], v[26:27], v[56:57]
	v_add_f64_e32 v[66:67], v[32:33], v[38:39]
	v_add_f64_e64 v[32:33], v[32:33], -v[38:39]
	v_add_f64_e64 v[68:69], v[36:37], -v[34:35]
	v_add_f64_e32 v[34:35], v[36:37], v[34:35]
	v_add_f64_e32 v[38:39], v[44:45], v[42:43]
	v_add_f64_e64 v[36:37], v[26:27], -v[56:57]
	v_add_f64_e64 v[42:43], v[44:45], -v[42:43]
	v_add_f64_e32 v[26:27], v[60:61], v[62:63]
	v_add_f64_e64 v[75:76], v[40:41], -v[30:31]
	v_add_f64_e32 v[44:45], v[64:65], v[66:67]
	v_add_f64_e64 v[46:47], v[68:69], -v[32:33]
	v_add_f64_e64 v[58:59], v[34:35], -v[66:67]
	;; [unrolled: 1-line block ×5, first 2 shown]
	v_add_f64_e32 v[32:33], v[68:69], v[32:33]
	v_add_f64_e32 v[73:74], v[38:39], v[26:27]
	v_add_f64_e64 v[38:39], v[60:61], -v[38:39]
	v_add_f64_e64 v[26:27], v[42:43], -v[40:41]
	v_add_f64_e32 v[40:41], v[42:43], v[40:41]
	v_add_f64_e32 v[44:45], v[34:35], v[44:45]
	v_add_f64_e64 v[34:35], v[64:65], -v[34:35]
	v_mul_f64_e32 v[46:47], s[18:19], v[46:47]
	v_mul_f64_e32 v[58:59], s[6:7], v[58:59]
	;; [unrolled: 1-line block ×4, first 2 shown]
	v_add_f64_e64 v[60:61], v[62:63], -v[60:61]
	v_add_f64_e64 v[42:43], v[30:31], -v[42:43]
	v_mul_f64_e32 v[81:82], s[2:3], v[75:76]
	v_add_f64_e64 v[64:65], v[66:67], -v[64:65]
	v_add_f64_e32 v[32:33], v[36:37], v[32:33]
	v_add_f64_e32 v[28:29], v[28:29], v[73:74]
	v_mul_f64_e32 v[62:63], s[22:23], v[38:39]
	v_mul_f64_e32 v[79:80], s[18:19], v[26:27]
	v_add_f64_e32 v[30:31], v[30:31], v[40:41]
	v_add_f64_e32 v[26:27], v[24:25], v[44:45]
	v_mul_f64_e32 v[24:25], s[22:23], v[34:35]
	v_fma_f64 v[36:37], v[77:78], s[20:21], v[46:47]
	v_fma_f64 v[34:35], v[34:35], s[22:23], v[58:59]
	;; [unrolled: 1-line block ×3, first 2 shown]
	s_wait_alu 0xfffe
	v_fma_f64 v[40:41], v[77:78], s[14:15], -v[68:69]
	v_fma_f64 v[56:57], v[60:61], s[16:17], -v[56:57]
	;; [unrolled: 1-line block ×4, first 2 shown]
	v_fma_f64 v[66:67], v[73:74], s[10:11], v[28:29]
	v_fma_f64 v[62:63], v[60:61], s[12:13], -v[62:63]
	v_fma_f64 v[60:61], v[42:43], s[20:21], v[79:80]
	v_fma_f64 v[42:43], v[42:43], s[14:15], -v[81:82]
	v_fma_f64 v[68:69], v[75:76], s[2:3], -v[79:80]
	v_fma_f64 v[44:45], v[44:45], s[10:11], v[26:27]
	v_fma_f64 v[24:25], v[64:65], s[12:13], -v[24:25]
	v_fma_f64 v[64:65], v[32:33], s[24:25], v[36:37]
	v_fma_f64 v[70:71], v[32:33], s[24:25], v[40:41]
	;; [unrolled: 1-line block ×3, first 2 shown]
	v_add_f64_e32 v[38:39], v[38:39], v[66:67]
	v_add_f64_e32 v[62:63], v[62:63], v[66:67]
	;; [unrolled: 1-line block ×3, first 2 shown]
	v_fma_f64 v[66:67], v[30:31], s[24:25], v[60:61]
	v_fma_f64 v[73:74], v[30:31], s[24:25], v[42:43]
	;; [unrolled: 1-line block ×3, first 2 shown]
	v_add_f64_e32 v[68:69], v[34:35], v[44:45]
	v_add_f64_e32 v[24:25], v[24:25], v[44:45]
	;; [unrolled: 1-line block ×5, first 2 shown]
	v_add_f64_e64 v[58:59], v[62:63], -v[70:71]
	v_add_f64_e64 v[62:63], v[38:39], -v[64:65]
	v_add_f64_e64 v[40:41], v[56:57], -v[46:47]
	v_add_f64_e32 v[44:45], v[46:47], v[56:57]
	v_add_f64_e32 v[60:61], v[66:67], v[68:69]
	;; [unrolled: 1-line block ×3, first 2 shown]
	v_add_f64_e64 v[42:43], v[34:35], -v[30:31]
	v_add_f64_e32 v[38:39], v[30:31], v[34:35]
	v_add_f64_e64 v[34:35], v[24:25], -v[73:74]
	v_add_f64_e64 v[30:31], v[68:69], -v[66:67]
	v_lshlrev_b64_e32 v[24:25], 4, v[48:49]
	v_add_co_u32 v46, vcc_lo, s8, v50
	s_wait_alu 0xfffd
	v_add_co_ci_u32_e32 v47, vcc_lo, s9, v51, vcc_lo
	s_delay_alu instid0(VALU_DEP_2) | instskip(SKIP_1) | instid1(VALU_DEP_2)
	v_add_co_u32 v24, vcc_lo, v46, v24
	s_wait_alu 0xfffd
	v_add_co_ci_u32_e32 v25, vcc_lo, v47, v25, vcc_lo
	s_clause 0x6
	global_store_b128 v[24:25], v[26:29], off
	global_store_b128 v[24:25], v[60:63], off offset:1536
	global_store_b128 v[24:25], v[56:59], off offset:3072
	;; [unrolled: 1-line block ×6, first 2 shown]
	s_and_b32 exec_lo, exec_lo, s0
	s_cbranch_execz .LBB0_18
; %bb.17:
	v_subrev_nc_u32_e32 v26, 40, v48
	s_delay_alu instid0(VALU_DEP_1) | instskip(NEXT) | instid1(VALU_DEP_1)
	v_cndmask_b32_e64 v26, v26, v72, s0
	v_mul_i32_i24_e32 v48, 6, v26
	s_delay_alu instid0(VALU_DEP_1) | instskip(NEXT) | instid1(VALU_DEP_1)
	v_lshlrev_b64_e32 v[26:27], 4, v[48:49]
	v_add_co_u32 v46, vcc_lo, s4, v26
	s_wait_alu 0xfffd
	s_delay_alu instid0(VALU_DEP_2)
	v_add_co_ci_u32_e32 v47, vcc_lo, s5, v27, vcc_lo
	s_clause 0x5
	global_load_b128 v[26:29], v[46:47], off offset:1504
	global_load_b128 v[30:33], v[46:47], off offset:1520
	;; [unrolled: 1-line block ×6, first 2 shown]
	s_wait_loadcnt 0x5
	v_mul_f64_e32 v[50:51], v[14:15], v[28:29]
	v_mul_f64_e32 v[28:29], v[2:3], v[28:29]
	s_wait_loadcnt 0x4
	v_mul_f64_e32 v[56:57], v[16:17], v[32:33]
	v_mul_f64_e32 v[32:33], v[4:5], v[32:33]
	s_wait_loadcnt 0x3
	v_mul_f64_e32 v[58:59], v[54:55], v[36:37]
	v_mul_f64_e32 v[36:37], v[52:53], v[36:37]
	s_wait_loadcnt 0x2
	v_mul_f64_e32 v[60:61], v[22:23], v[40:41]
	v_mul_f64_e32 v[40:41], v[10:11], v[40:41]
	s_wait_loadcnt 0x1
	v_mul_f64_e32 v[62:63], v[18:19], v[44:45]
	v_mul_f64_e32 v[44:45], v[6:7], v[44:45]
	s_wait_loadcnt 0x0
	v_mul_f64_e32 v[64:65], v[20:21], v[48:49]
	v_mul_f64_e32 v[48:49], v[8:9], v[48:49]
	v_fma_f64 v[2:3], v[2:3], v[26:27], -v[50:51]
	v_fma_f64 v[14:15], v[14:15], v[26:27], v[28:29]
	v_fma_f64 v[4:5], v[4:5], v[30:31], -v[56:57]
	v_fma_f64 v[16:17], v[16:17], v[30:31], v[32:33]
	;; [unrolled: 2-line block ×6, first 2 shown]
	v_add_f64_e32 v[30:31], v[2:3], v[26:27]
	v_add_f64_e32 v[32:33], v[14:15], v[28:29]
	;; [unrolled: 1-line block ×4, first 2 shown]
	v_add_f64_e64 v[4:5], v[4:5], -v[10:11]
	v_add_f64_e64 v[10:11], v[16:17], -v[22:23]
	v_add_f64_e32 v[16:17], v[6:7], v[8:9]
	v_add_f64_e32 v[22:23], v[18:19], v[20:21]
	v_add_f64_e64 v[6:7], v[8:9], -v[6:7]
	v_add_f64_e64 v[8:9], v[20:21], -v[18:19]
	;; [unrolled: 1-line block ×4, first 2 shown]
	v_add_f64_e32 v[2:3], v[34:35], v[30:31]
	v_add_f64_e32 v[20:21], v[36:37], v[32:33]
	v_add_f64_e64 v[26:27], v[30:31], -v[16:17]
	v_add_f64_e64 v[28:29], v[32:33], -v[22:23]
	;; [unrolled: 1-line block ×6, first 2 shown]
	v_add_f64_e32 v[4:5], v[6:7], v[4:5]
	v_add_f64_e32 v[10:11], v[8:9], v[10:11]
	v_add_f64_e64 v[6:7], v[18:19], -v[6:7]
	v_add_f64_e64 v[8:9], v[14:15], -v[8:9]
	v_add_f64_e32 v[46:47], v[16:17], v[2:3]
	v_add_f64_e32 v[20:21], v[22:23], v[20:21]
	v_add_f64_e64 v[16:17], v[16:17], -v[34:35]
	v_add_f64_e64 v[22:23], v[22:23], -v[36:37]
	v_mul_f64_e32 v[26:27], s[22:23], v[26:27]
	v_mul_f64_e32 v[28:29], s[22:23], v[28:29]
	;; [unrolled: 1-line block ×6, first 2 shown]
	v_add_f64_e32 v[4:5], v[4:5], v[18:19]
	v_add_f64_e32 v[10:11], v[10:11], v[14:15]
	;; [unrolled: 1-line block ×4, first 2 shown]
	v_add_f64_e64 v[12:13], v[34:35], -v[30:31]
	v_add_f64_e64 v[30:31], v[36:37], -v[32:33]
	v_mul_f64_e32 v[32:33], s[6:7], v[16:17]
	v_mul_f64_e32 v[34:35], s[6:7], v[22:23]
	v_fma_f64 v[14:15], v[16:17], s[6:7], v[26:27]
	v_fma_f64 v[16:17], v[22:23], s[6:7], v[28:29]
	;; [unrolled: 1-line block ×4, first 2 shown]
	v_fma_f64 v[36:37], v[42:43], s[2:3], -v[38:39]
	v_fma_f64 v[38:39], v[44:45], s[2:3], -v[40:41]
	;; [unrolled: 1-line block ×4, first 2 shown]
	v_fma_f64 v[40:41], v[46:47], s[10:11], v[0:1]
	v_fma_f64 v[20:21], v[20:21], s[10:11], v[2:3]
	v_fma_f64 v[26:27], v[12:13], s[12:13], -v[26:27]
	v_fma_f64 v[28:29], v[30:31], s[12:13], -v[28:29]
	;; [unrolled: 1-line block ×4, first 2 shown]
	v_fma_f64 v[32:33], v[4:5], s[24:25], v[18:19]
	v_fma_f64 v[34:35], v[10:11], s[24:25], v[22:23]
	;; [unrolled: 1-line block ×6, first 2 shown]
	v_add_f64_e32 v[42:43], v[14:15], v[40:41]
	v_add_f64_e32 v[44:45], v[16:17], v[20:21]
	;; [unrolled: 1-line block ×7, first 2 shown]
	v_add_f64_e64 v[6:7], v[44:45], -v[32:33]
	v_add_f64_e32 v[8:9], v[38:39], v[26:27]
	v_add_f64_e64 v[10:11], v[28:29], -v[36:37]
	v_add_f64_e64 v[12:13], v[16:17], -v[22:23]
	v_add_f64_e32 v[14:15], v[18:19], v[20:21]
	v_add_f64_e32 v[16:17], v[22:23], v[16:17]
	v_add_f64_e64 v[18:19], v[20:21], -v[18:19]
	v_add_f64_e64 v[20:21], v[26:27], -v[38:39]
	v_add_f64_e32 v[22:23], v[36:37], v[28:29]
	v_add_f64_e64 v[26:27], v[42:43], -v[34:35]
	v_add_f64_e32 v[28:29], v[32:33], v[44:45]
	s_clause 0x6
	global_store_b128 v[24:25], v[0:3], off offset:896
	global_store_b128 v[24:25], v[4:7], off offset:2432
	;; [unrolled: 1-line block ×7, first 2 shown]
.LBB0_18:
	s_nop 0
	s_sendmsg sendmsg(MSG_DEALLOC_VGPRS)
	s_endpgm
	.section	.rodata,"a",@progbits
	.p2align	6, 0x0
	.amdhsa_kernel fft_rtc_fwd_len672_factors_2_2_2_2_2_3_7_wgs_56_tpt_56_halfLds_dp_ip_CI_unitstride_sbrr_dirReg
		.amdhsa_group_segment_fixed_size 0
		.amdhsa_private_segment_fixed_size 0
		.amdhsa_kernarg_size 88
		.amdhsa_user_sgpr_count 2
		.amdhsa_user_sgpr_dispatch_ptr 0
		.amdhsa_user_sgpr_queue_ptr 0
		.amdhsa_user_sgpr_kernarg_segment_ptr 1
		.amdhsa_user_sgpr_dispatch_id 0
		.amdhsa_user_sgpr_private_segment_size 0
		.amdhsa_wavefront_size32 1
		.amdhsa_uses_dynamic_stack 0
		.amdhsa_enable_private_segment 0
		.amdhsa_system_sgpr_workgroup_id_x 1
		.amdhsa_system_sgpr_workgroup_id_y 0
		.amdhsa_system_sgpr_workgroup_id_z 0
		.amdhsa_system_sgpr_workgroup_info 0
		.amdhsa_system_vgpr_workitem_id 0
		.amdhsa_next_free_vgpr 113
		.amdhsa_next_free_sgpr 32
		.amdhsa_reserve_vcc 1
		.amdhsa_float_round_mode_32 0
		.amdhsa_float_round_mode_16_64 0
		.amdhsa_float_denorm_mode_32 3
		.amdhsa_float_denorm_mode_16_64 3
		.amdhsa_fp16_overflow 0
		.amdhsa_workgroup_processor_mode 1
		.amdhsa_memory_ordered 1
		.amdhsa_forward_progress 0
		.amdhsa_round_robin_scheduling 0
		.amdhsa_exception_fp_ieee_invalid_op 0
		.amdhsa_exception_fp_denorm_src 0
		.amdhsa_exception_fp_ieee_div_zero 0
		.amdhsa_exception_fp_ieee_overflow 0
		.amdhsa_exception_fp_ieee_underflow 0
		.amdhsa_exception_fp_ieee_inexact 0
		.amdhsa_exception_int_div_zero 0
	.end_amdhsa_kernel
	.text
.Lfunc_end0:
	.size	fft_rtc_fwd_len672_factors_2_2_2_2_2_3_7_wgs_56_tpt_56_halfLds_dp_ip_CI_unitstride_sbrr_dirReg, .Lfunc_end0-fft_rtc_fwd_len672_factors_2_2_2_2_2_3_7_wgs_56_tpt_56_halfLds_dp_ip_CI_unitstride_sbrr_dirReg
                                        ; -- End function
	.section	.AMDGPU.csdata,"",@progbits
; Kernel info:
; codeLenInByte = 8828
; NumSgprs: 34
; NumVgprs: 113
; ScratchSize: 0
; MemoryBound: 1
; FloatMode: 240
; IeeeMode: 1
; LDSByteSize: 0 bytes/workgroup (compile time only)
; SGPRBlocks: 4
; VGPRBlocks: 14
; NumSGPRsForWavesPerEU: 34
; NumVGPRsForWavesPerEU: 113
; Occupancy: 12
; WaveLimiterHint : 1
; COMPUTE_PGM_RSRC2:SCRATCH_EN: 0
; COMPUTE_PGM_RSRC2:USER_SGPR: 2
; COMPUTE_PGM_RSRC2:TRAP_HANDLER: 0
; COMPUTE_PGM_RSRC2:TGID_X_EN: 1
; COMPUTE_PGM_RSRC2:TGID_Y_EN: 0
; COMPUTE_PGM_RSRC2:TGID_Z_EN: 0
; COMPUTE_PGM_RSRC2:TIDIG_COMP_CNT: 0
	.text
	.p2alignl 7, 3214868480
	.fill 96, 4, 3214868480
	.type	__hip_cuid_e3df1a66a41f7682,@object ; @__hip_cuid_e3df1a66a41f7682
	.section	.bss,"aw",@nobits
	.globl	__hip_cuid_e3df1a66a41f7682
__hip_cuid_e3df1a66a41f7682:
	.byte	0                               ; 0x0
	.size	__hip_cuid_e3df1a66a41f7682, 1

	.ident	"AMD clang version 19.0.0git (https://github.com/RadeonOpenCompute/llvm-project roc-6.4.0 25133 c7fe45cf4b819c5991fe208aaa96edf142730f1d)"
	.section	".note.GNU-stack","",@progbits
	.addrsig
	.addrsig_sym __hip_cuid_e3df1a66a41f7682
	.amdgpu_metadata
---
amdhsa.kernels:
  - .args:
      - .actual_access:  read_only
        .address_space:  global
        .offset:         0
        .size:           8
        .value_kind:     global_buffer
      - .offset:         8
        .size:           8
        .value_kind:     by_value
      - .actual_access:  read_only
        .address_space:  global
        .offset:         16
        .size:           8
        .value_kind:     global_buffer
      - .actual_access:  read_only
        .address_space:  global
        .offset:         24
        .size:           8
        .value_kind:     global_buffer
      - .offset:         32
        .size:           8
        .value_kind:     by_value
      - .actual_access:  read_only
        .address_space:  global
        .offset:         40
        .size:           8
        .value_kind:     global_buffer
      - .actual_access:  read_only
        .address_space:  global
        .offset:         48
        .size:           8
        .value_kind:     global_buffer
      - .offset:         56
        .size:           4
        .value_kind:     by_value
      - .actual_access:  read_only
        .address_space:  global
        .offset:         64
        .size:           8
        .value_kind:     global_buffer
      - .actual_access:  read_only
        .address_space:  global
        .offset:         72
        .size:           8
        .value_kind:     global_buffer
      - .address_space:  global
        .offset:         80
        .size:           8
        .value_kind:     global_buffer
    .group_segment_fixed_size: 0
    .kernarg_segment_align: 8
    .kernarg_segment_size: 88
    .language:       OpenCL C
    .language_version:
      - 2
      - 0
    .max_flat_workgroup_size: 56
    .name:           fft_rtc_fwd_len672_factors_2_2_2_2_2_3_7_wgs_56_tpt_56_halfLds_dp_ip_CI_unitstride_sbrr_dirReg
    .private_segment_fixed_size: 0
    .sgpr_count:     34
    .sgpr_spill_count: 0
    .symbol:         fft_rtc_fwd_len672_factors_2_2_2_2_2_3_7_wgs_56_tpt_56_halfLds_dp_ip_CI_unitstride_sbrr_dirReg.kd
    .uniform_work_group_size: 1
    .uses_dynamic_stack: false
    .vgpr_count:     113
    .vgpr_spill_count: 0
    .wavefront_size: 32
    .workgroup_processor_mode: 1
amdhsa.target:   amdgcn-amd-amdhsa--gfx1201
amdhsa.version:
  - 1
  - 2
...

	.end_amdgpu_metadata
